;; amdgpu-corpus repo=ROCm/rocFFT kind=compiled arch=gfx1100 opt=O3
	.text
	.amdgcn_target "amdgcn-amd-amdhsa--gfx1100"
	.amdhsa_code_object_version 6
	.protected	fft_rtc_back_len1170_factors_2_13_3_5_3_wgs_117_tpt_117_dp_ip_CI_unitstride_sbrr_dirReg ; -- Begin function fft_rtc_back_len1170_factors_2_13_3_5_3_wgs_117_tpt_117_dp_ip_CI_unitstride_sbrr_dirReg
	.globl	fft_rtc_back_len1170_factors_2_13_3_5_3_wgs_117_tpt_117_dp_ip_CI_unitstride_sbrr_dirReg
	.p2align	8
	.type	fft_rtc_back_len1170_factors_2_13_3_5_3_wgs_117_tpt_117_dp_ip_CI_unitstride_sbrr_dirReg,@function
fft_rtc_back_len1170_factors_2_13_3_5_3_wgs_117_tpt_117_dp_ip_CI_unitstride_sbrr_dirReg: ; @fft_rtc_back_len1170_factors_2_13_3_5_3_wgs_117_tpt_117_dp_ip_CI_unitstride_sbrr_dirReg
; %bb.0:
	s_clause 0x2
	s_load_b128 s[4:7], s[0:1], 0x0
	s_load_b64 s[8:9], s[0:1], 0x50
	s_load_b64 s[10:11], s[0:1], 0x18
	v_mul_u32_u24_e32 v1, 0x231, v0
	v_mov_b32_e32 v3, 0
	v_mov_b32_e32 v4, 0
	s_delay_alu instid0(VALU_DEP_3) | instskip(SKIP_1) | instid1(VALU_DEP_1)
	v_lshrrev_b32_e32 v2, 16, v1
	v_mov_b32_e32 v1, 0
	v_dual_mov_b32 v6, v1 :: v_dual_add_nc_u32 v5, s15, v2
	s_waitcnt lgkmcnt(0)
	v_cmp_lt_u64_e64 s2, s[6:7], 2
	s_delay_alu instid0(VALU_DEP_1)
	s_and_b32 vcc_lo, exec_lo, s2
	s_cbranch_vccnz .LBB0_8
; %bb.1:
	s_load_b64 s[2:3], s[0:1], 0x10
	v_mov_b32_e32 v3, 0
	s_add_u32 s12, s10, 8
	v_mov_b32_e32 v4, 0
	s_addc_u32 s13, s11, 0
	s_mov_b64 s[16:17], 1
	s_waitcnt lgkmcnt(0)
	s_add_u32 s14, s2, 8
	s_addc_u32 s15, s3, 0
.LBB0_2:                                ; =>This Inner Loop Header: Depth=1
	s_load_b64 s[18:19], s[14:15], 0x0
                                        ; implicit-def: $vgpr7_vgpr8
	s_mov_b32 s2, exec_lo
	s_waitcnt lgkmcnt(0)
	v_or_b32_e32 v2, s19, v6
	s_delay_alu instid0(VALU_DEP_1)
	v_cmpx_ne_u64_e32 0, v[1:2]
	s_xor_b32 s3, exec_lo, s2
	s_cbranch_execz .LBB0_4
; %bb.3:                                ;   in Loop: Header=BB0_2 Depth=1
	v_cvt_f32_u32_e32 v2, s18
	v_cvt_f32_u32_e32 v7, s19
	s_sub_u32 s2, 0, s18
	s_subb_u32 s20, 0, s19
	s_delay_alu instid0(VALU_DEP_1) | instskip(NEXT) | instid1(VALU_DEP_1)
	v_fmac_f32_e32 v2, 0x4f800000, v7
	v_rcp_f32_e32 v2, v2
	s_waitcnt_depctr 0xfff
	v_mul_f32_e32 v2, 0x5f7ffffc, v2
	s_delay_alu instid0(VALU_DEP_1) | instskip(NEXT) | instid1(VALU_DEP_1)
	v_mul_f32_e32 v7, 0x2f800000, v2
	v_trunc_f32_e32 v7, v7
	s_delay_alu instid0(VALU_DEP_1) | instskip(SKIP_1) | instid1(VALU_DEP_2)
	v_fmac_f32_e32 v2, 0xcf800000, v7
	v_cvt_u32_f32_e32 v7, v7
	v_cvt_u32_f32_e32 v2, v2
	s_delay_alu instid0(VALU_DEP_2) | instskip(NEXT) | instid1(VALU_DEP_2)
	v_mul_lo_u32 v8, s2, v7
	v_mul_hi_u32 v9, s2, v2
	v_mul_lo_u32 v10, s20, v2
	s_delay_alu instid0(VALU_DEP_2) | instskip(SKIP_1) | instid1(VALU_DEP_2)
	v_add_nc_u32_e32 v8, v9, v8
	v_mul_lo_u32 v9, s2, v2
	v_add_nc_u32_e32 v8, v8, v10
	s_delay_alu instid0(VALU_DEP_2) | instskip(NEXT) | instid1(VALU_DEP_2)
	v_mul_hi_u32 v10, v2, v9
	v_mul_lo_u32 v11, v2, v8
	v_mul_hi_u32 v12, v2, v8
	v_mul_hi_u32 v13, v7, v9
	v_mul_lo_u32 v9, v7, v9
	v_mul_hi_u32 v14, v7, v8
	v_mul_lo_u32 v8, v7, v8
	v_add_co_u32 v10, vcc_lo, v10, v11
	v_add_co_ci_u32_e32 v11, vcc_lo, 0, v12, vcc_lo
	s_delay_alu instid0(VALU_DEP_2) | instskip(NEXT) | instid1(VALU_DEP_2)
	v_add_co_u32 v9, vcc_lo, v10, v9
	v_add_co_ci_u32_e32 v9, vcc_lo, v11, v13, vcc_lo
	v_add_co_ci_u32_e32 v10, vcc_lo, 0, v14, vcc_lo
	s_delay_alu instid0(VALU_DEP_2) | instskip(NEXT) | instid1(VALU_DEP_2)
	v_add_co_u32 v8, vcc_lo, v9, v8
	v_add_co_ci_u32_e32 v9, vcc_lo, 0, v10, vcc_lo
	s_delay_alu instid0(VALU_DEP_2) | instskip(NEXT) | instid1(VALU_DEP_2)
	v_add_co_u32 v2, vcc_lo, v2, v8
	v_add_co_ci_u32_e32 v7, vcc_lo, v7, v9, vcc_lo
	s_delay_alu instid0(VALU_DEP_2) | instskip(SKIP_1) | instid1(VALU_DEP_3)
	v_mul_hi_u32 v8, s2, v2
	v_mul_lo_u32 v10, s20, v2
	v_mul_lo_u32 v9, s2, v7
	s_delay_alu instid0(VALU_DEP_1) | instskip(SKIP_1) | instid1(VALU_DEP_2)
	v_add_nc_u32_e32 v8, v8, v9
	v_mul_lo_u32 v9, s2, v2
	v_add_nc_u32_e32 v8, v8, v10
	s_delay_alu instid0(VALU_DEP_2) | instskip(NEXT) | instid1(VALU_DEP_2)
	v_mul_hi_u32 v10, v2, v9
	v_mul_lo_u32 v11, v2, v8
	v_mul_hi_u32 v12, v2, v8
	v_mul_hi_u32 v13, v7, v9
	v_mul_lo_u32 v9, v7, v9
	v_mul_hi_u32 v14, v7, v8
	v_mul_lo_u32 v8, v7, v8
	v_add_co_u32 v10, vcc_lo, v10, v11
	v_add_co_ci_u32_e32 v11, vcc_lo, 0, v12, vcc_lo
	s_delay_alu instid0(VALU_DEP_2) | instskip(NEXT) | instid1(VALU_DEP_2)
	v_add_co_u32 v9, vcc_lo, v10, v9
	v_add_co_ci_u32_e32 v9, vcc_lo, v11, v13, vcc_lo
	v_add_co_ci_u32_e32 v10, vcc_lo, 0, v14, vcc_lo
	s_delay_alu instid0(VALU_DEP_2) | instskip(NEXT) | instid1(VALU_DEP_2)
	v_add_co_u32 v8, vcc_lo, v9, v8
	v_add_co_ci_u32_e32 v9, vcc_lo, 0, v10, vcc_lo
	s_delay_alu instid0(VALU_DEP_2) | instskip(NEXT) | instid1(VALU_DEP_2)
	v_add_co_u32 v2, vcc_lo, v2, v8
	v_add_co_ci_u32_e32 v13, vcc_lo, v7, v9, vcc_lo
	s_delay_alu instid0(VALU_DEP_2) | instskip(SKIP_1) | instid1(VALU_DEP_3)
	v_mul_hi_u32 v14, v5, v2
	v_mad_u64_u32 v[9:10], null, v6, v2, 0
	v_mad_u64_u32 v[7:8], null, v5, v13, 0
	;; [unrolled: 1-line block ×3, first 2 shown]
	s_delay_alu instid0(VALU_DEP_2) | instskip(NEXT) | instid1(VALU_DEP_3)
	v_add_co_u32 v2, vcc_lo, v14, v7
	v_add_co_ci_u32_e32 v7, vcc_lo, 0, v8, vcc_lo
	s_delay_alu instid0(VALU_DEP_2) | instskip(NEXT) | instid1(VALU_DEP_2)
	v_add_co_u32 v2, vcc_lo, v2, v9
	v_add_co_ci_u32_e32 v2, vcc_lo, v7, v10, vcc_lo
	v_add_co_ci_u32_e32 v7, vcc_lo, 0, v12, vcc_lo
	s_delay_alu instid0(VALU_DEP_2) | instskip(NEXT) | instid1(VALU_DEP_2)
	v_add_co_u32 v2, vcc_lo, v2, v11
	v_add_co_ci_u32_e32 v9, vcc_lo, 0, v7, vcc_lo
	s_delay_alu instid0(VALU_DEP_2) | instskip(SKIP_1) | instid1(VALU_DEP_3)
	v_mul_lo_u32 v10, s19, v2
	v_mad_u64_u32 v[7:8], null, s18, v2, 0
	v_mul_lo_u32 v11, s18, v9
	s_delay_alu instid0(VALU_DEP_2) | instskip(NEXT) | instid1(VALU_DEP_2)
	v_sub_co_u32 v7, vcc_lo, v5, v7
	v_add3_u32 v8, v8, v11, v10
	s_delay_alu instid0(VALU_DEP_1) | instskip(NEXT) | instid1(VALU_DEP_1)
	v_sub_nc_u32_e32 v10, v6, v8
	v_subrev_co_ci_u32_e64 v10, s2, s19, v10, vcc_lo
	v_add_co_u32 v11, s2, v2, 2
	s_delay_alu instid0(VALU_DEP_1) | instskip(SKIP_3) | instid1(VALU_DEP_3)
	v_add_co_ci_u32_e64 v12, s2, 0, v9, s2
	v_sub_co_u32 v13, s2, v7, s18
	v_sub_co_ci_u32_e32 v8, vcc_lo, v6, v8, vcc_lo
	v_subrev_co_ci_u32_e64 v10, s2, 0, v10, s2
	v_cmp_le_u32_e32 vcc_lo, s18, v13
	s_delay_alu instid0(VALU_DEP_3) | instskip(SKIP_1) | instid1(VALU_DEP_4)
	v_cmp_eq_u32_e64 s2, s19, v8
	v_cndmask_b32_e64 v13, 0, -1, vcc_lo
	v_cmp_le_u32_e32 vcc_lo, s19, v10
	v_cndmask_b32_e64 v14, 0, -1, vcc_lo
	v_cmp_le_u32_e32 vcc_lo, s18, v7
	;; [unrolled: 2-line block ×3, first 2 shown]
	v_cndmask_b32_e64 v15, 0, -1, vcc_lo
	v_cmp_eq_u32_e32 vcc_lo, s19, v10
	s_delay_alu instid0(VALU_DEP_2) | instskip(SKIP_3) | instid1(VALU_DEP_3)
	v_cndmask_b32_e64 v7, v15, v7, s2
	v_cndmask_b32_e32 v10, v14, v13, vcc_lo
	v_add_co_u32 v13, vcc_lo, v2, 1
	v_add_co_ci_u32_e32 v14, vcc_lo, 0, v9, vcc_lo
	v_cmp_ne_u32_e32 vcc_lo, 0, v10
	s_delay_alu instid0(VALU_DEP_2) | instskip(NEXT) | instid1(VALU_DEP_4)
	v_cndmask_b32_e32 v8, v14, v12, vcc_lo
	v_cndmask_b32_e32 v10, v13, v11, vcc_lo
	v_cmp_ne_u32_e32 vcc_lo, 0, v7
	s_delay_alu instid0(VALU_DEP_2)
	v_dual_cndmask_b32 v7, v2, v10 :: v_dual_cndmask_b32 v8, v9, v8
.LBB0_4:                                ;   in Loop: Header=BB0_2 Depth=1
	s_and_not1_saveexec_b32 s2, s3
	s_cbranch_execz .LBB0_6
; %bb.5:                                ;   in Loop: Header=BB0_2 Depth=1
	v_cvt_f32_u32_e32 v2, s18
	s_sub_i32 s3, 0, s18
	s_delay_alu instid0(VALU_DEP_1) | instskip(SKIP_2) | instid1(VALU_DEP_1)
	v_rcp_iflag_f32_e32 v2, v2
	s_waitcnt_depctr 0xfff
	v_mul_f32_e32 v2, 0x4f7ffffe, v2
	v_cvt_u32_f32_e32 v2, v2
	s_delay_alu instid0(VALU_DEP_1) | instskip(NEXT) | instid1(VALU_DEP_1)
	v_mul_lo_u32 v7, s3, v2
	v_mul_hi_u32 v7, v2, v7
	s_delay_alu instid0(VALU_DEP_1) | instskip(NEXT) | instid1(VALU_DEP_1)
	v_add_nc_u32_e32 v2, v2, v7
	v_mul_hi_u32 v2, v5, v2
	s_delay_alu instid0(VALU_DEP_1) | instskip(SKIP_1) | instid1(VALU_DEP_2)
	v_mul_lo_u32 v7, v2, s18
	v_add_nc_u32_e32 v8, 1, v2
	v_sub_nc_u32_e32 v7, v5, v7
	s_delay_alu instid0(VALU_DEP_1) | instskip(SKIP_1) | instid1(VALU_DEP_2)
	v_subrev_nc_u32_e32 v9, s18, v7
	v_cmp_le_u32_e32 vcc_lo, s18, v7
	v_dual_cndmask_b32 v7, v7, v9 :: v_dual_cndmask_b32 v2, v2, v8
	s_delay_alu instid0(VALU_DEP_1) | instskip(NEXT) | instid1(VALU_DEP_2)
	v_cmp_le_u32_e32 vcc_lo, s18, v7
	v_add_nc_u32_e32 v8, 1, v2
	s_delay_alu instid0(VALU_DEP_1)
	v_dual_cndmask_b32 v7, v2, v8 :: v_dual_mov_b32 v8, v1
.LBB0_6:                                ;   in Loop: Header=BB0_2 Depth=1
	s_or_b32 exec_lo, exec_lo, s2
	s_load_b64 s[2:3], s[12:13], 0x0
	s_delay_alu instid0(VALU_DEP_1) | instskip(NEXT) | instid1(VALU_DEP_2)
	v_mul_lo_u32 v2, v8, s18
	v_mul_lo_u32 v11, v7, s19
	v_mad_u64_u32 v[9:10], null, v7, s18, 0
	s_add_u32 s16, s16, 1
	s_addc_u32 s17, s17, 0
	s_add_u32 s12, s12, 8
	s_addc_u32 s13, s13, 0
	;; [unrolled: 2-line block ×3, first 2 shown]
	s_delay_alu instid0(VALU_DEP_1) | instskip(SKIP_1) | instid1(VALU_DEP_2)
	v_add3_u32 v2, v10, v11, v2
	v_sub_co_u32 v9, vcc_lo, v5, v9
	v_sub_co_ci_u32_e32 v2, vcc_lo, v6, v2, vcc_lo
	s_waitcnt lgkmcnt(0)
	s_delay_alu instid0(VALU_DEP_2) | instskip(NEXT) | instid1(VALU_DEP_2)
	v_mul_lo_u32 v10, s3, v9
	v_mul_lo_u32 v2, s2, v2
	v_mad_u64_u32 v[5:6], null, s2, v9, v[3:4]
	v_cmp_ge_u64_e64 s2, s[16:17], s[6:7]
	s_delay_alu instid0(VALU_DEP_1) | instskip(NEXT) | instid1(VALU_DEP_2)
	s_and_b32 vcc_lo, exec_lo, s2
	v_add3_u32 v4, v10, v6, v2
	s_delay_alu instid0(VALU_DEP_3)
	v_mov_b32_e32 v3, v5
	s_cbranch_vccnz .LBB0_9
; %bb.7:                                ;   in Loop: Header=BB0_2 Depth=1
	v_dual_mov_b32 v5, v7 :: v_dual_mov_b32 v6, v8
	s_branch .LBB0_2
.LBB0_8:
	v_dual_mov_b32 v8, v6 :: v_dual_mov_b32 v7, v5
.LBB0_9:
	s_lshl_b64 s[2:3], s[6:7], 3
                                        ; implicit-def: $vgpr30_vgpr31
                                        ; implicit-def: $vgpr26_vgpr27
                                        ; implicit-def: $vgpr42_vgpr43
                                        ; implicit-def: $vgpr34_vgpr35
                                        ; implicit-def: $vgpr10_vgpr11
                                        ; implicit-def: $vgpr22_vgpr23
                                        ; implicit-def: $vgpr18_vgpr19
                                        ; implicit-def: $vgpr14_vgpr15
	s_delay_alu instid0(SALU_CYCLE_1)
	s_add_u32 s2, s10, s2
	s_addc_u32 s3, s11, s3
	s_load_b64 s[2:3], s[2:3], 0x0
	s_load_b64 s[0:1], s[0:1], 0x20
	s_waitcnt lgkmcnt(0)
	v_mul_lo_u32 v5, s2, v8
	v_mul_lo_u32 v6, s3, v7
	v_mad_u64_u32 v[1:2], null, s2, v7, v[3:4]
	v_mul_hi_u32 v3, 0x2302303, v0
	v_cmp_gt_u64_e32 vcc_lo, s[0:1], v[7:8]
	s_delay_alu instid0(VALU_DEP_3) | instskip(NEXT) | instid1(VALU_DEP_3)
	v_add3_u32 v2, v6, v2, v5
                                        ; implicit-def: $vgpr6_vgpr7
	v_mul_u32_u24_e32 v3, 0x75, v3
	s_delay_alu instid0(VALU_DEP_2) | instskip(NEXT) | instid1(VALU_DEP_2)
	v_lshlrev_b64 v[54:55], 4, v[1:2]
	v_sub_nc_u32_e32 v52, v0, v3
                                        ; implicit-def: $vgpr2_vgpr3
	s_and_saveexec_b32 s1, vcc_lo
	s_cbranch_execz .LBB0_11
; %bb.10:
	v_mov_b32_e32 v53, 0
	s_delay_alu instid0(VALU_DEP_3) | instskip(NEXT) | instid1(VALU_DEP_1)
	v_add_co_u32 v2, s0, s8, v54
	v_add_co_ci_u32_e64 v3, s0, s9, v55, s0
	s_delay_alu instid0(VALU_DEP_3) | instskip(NEXT) | instid1(VALU_DEP_1)
	v_lshlrev_b64 v[0:1], 4, v[52:53]
	v_add_co_u32 v8, s0, v2, v0
	s_delay_alu instid0(VALU_DEP_1) | instskip(SKIP_4) | instid1(VALU_DEP_1)
	v_add_co_ci_u32_e64 v9, s0, v3, v1, s0
	s_clause 0x1
	global_load_b128 v[0:3], v[8:9], off
	global_load_b128 v[12:15], v[8:9], off offset:1872
	v_add_co_u32 v10, s0, 0x2000, v8
	v_add_co_ci_u32_e64 v11, s0, 0, v9, s0
	v_add_co_u32 v24, s0, 0x3000, v8
	s_delay_alu instid0(VALU_DEP_1) | instskip(SKIP_1) | instid1(VALU_DEP_1)
	v_add_co_ci_u32_e64 v25, s0, 0, v9, s0
	v_add_co_u32 v26, s0, 0x1000, v8
	v_add_co_ci_u32_e64 v27, s0, 0, v9, s0
	v_add_co_u32 v28, s0, 0x4000, v8
	s_delay_alu instid0(VALU_DEP_1)
	v_add_co_ci_u32_e64 v29, s0, 0, v9, s0
	s_clause 0x7
	global_load_b128 v[4:7], v[10:11], off offset:1168
	global_load_b128 v[20:23], v[8:9], off offset:3744
	;; [unrolled: 1-line block ×8, first 2 shown]
.LBB0_11:
	s_or_b32 exec_lo, exec_lo, s1
	s_waitcnt vmcnt(7)
	v_add_f64 v[36:37], v[0:1], -v[4:5]
	v_add_f64 v[38:39], v[2:3], -v[6:7]
	s_waitcnt vmcnt(5)
	v_add_f64 v[16:17], v[12:13], -v[16:17]
	v_add_f64 v[18:19], v[14:15], -v[18:19]
	;; [unrolled: 3-line block ×5, first 2 shown]
	v_add_nc_u32_e32 v189, 0x75, v52
	v_add_nc_u32_e32 v53, 0xea, v52
	;; [unrolled: 1-line block ×3, first 2 shown]
	v_cmp_gt_u32_e64 s0, 0x5a, v52
                                        ; implicit-def: $vgpr50_vgpr51
                                        ; implicit-def: $vgpr46_vgpr47
	v_fma_f64 v[0:1], v[0:1], 2.0, -v[36:37]
	v_fma_f64 v[2:3], v[2:3], 2.0, -v[38:39]
	;; [unrolled: 1-line block ×10, first 2 shown]
	v_lshl_add_u32 v32, v52, 5, 0
	v_lshl_add_u32 v33, v189, 5, 0
	;; [unrolled: 1-line block ×4, first 2 shown]
	ds_store_b128 v32, v[0:3]
	ds_store_b128 v32, v[36:39] offset:16
	ds_store_b128 v33, v[40:43]
	ds_store_b128 v33, v[16:19] offset:16
	;; [unrolled: 2-line block ×4, first 2 shown]
	ds_store_b128 v32, v[24:27] offset:14976
	ds_store_b128 v32, v[28:31] offset:14992
	s_waitcnt lgkmcnt(0)
	s_barrier
	buffer_gl0_inv
                                        ; implicit-def: $vgpr34_vgpr35
	s_and_saveexec_b32 s1, s0
	s_cbranch_execz .LBB0_13
; %bb.12:
	v_lshlrev_b32_e32 v0, 4, v52
	s_delay_alu instid0(VALU_DEP_1)
	v_sub_nc_u32_e32 v48, v32, v0
	ds_load_b128 v[0:3], v48
	ds_load_b128 v[36:39], v48 offset:1440
	ds_load_b128 v[40:43], v48 offset:2880
	;; [unrolled: 1-line block ×12, first 2 shown]
.LBB0_13:
	s_or_b32 exec_lo, exec_lo, s1
	v_and_b32_e32 v190, 1, v52
	s_mov_b32 s14, 0x42a4c3d2
	s_mov_b32 s6, 0x1ea71119
	;; [unrolled: 1-line block ×4, first 2 shown]
	v_mul_u32_u24_e32 v56, 12, v190
	s_mov_b32 s12, 0xebaa3ed8
	s_mov_b32 s26, 0x66966769
	;; [unrolled: 1-line block ×4, first 2 shown]
	v_lshlrev_b32_e32 v88, 4, v56
	s_mov_b32 s11, 0xbfedeba7
	s_mov_b32 s3, 0xbfd6b1d8
	;; [unrolled: 1-line block ×4, first 2 shown]
	s_clause 0xb
	global_load_b128 v[56:59], v88, s[4:5]
	global_load_b128 v[60:63], v88, s[4:5] offset:176
	global_load_b128 v[64:67], v88, s[4:5] offset:16
	global_load_b128 v[68:71], v88, s[4:5] offset:160
	global_load_b128 v[72:75], v88, s[4:5] offset:32
	global_load_b128 v[76:79], v88, s[4:5] offset:144
	global_load_b128 v[80:83], v88, s[4:5] offset:48
	global_load_b128 v[84:87], v88, s[4:5] offset:128
	global_load_b128 v[92:95], v88, s[4:5] offset:64
	global_load_b128 v[96:99], v88, s[4:5] offset:112
	global_load_b128 v[191:194], v88, s[4:5] offset:80
	global_load_b128 v[195:198], v88, s[4:5] offset:96
	s_mov_b32 s22, 0x4bc48dbf
	s_mov_b32 s16, 0x93053d00
	;; [unrolled: 1-line block ×22, first 2 shown]
	s_waitcnt vmcnt(0) lgkmcnt(0)
	s_barrier
	buffer_gl0_inv
	v_mul_f64 v[88:89], v[36:37], v[58:59]
	v_mul_f64 v[100:101], v[48:49], v[62:63]
	;; [unrolled: 1-line block ×10, first 2 shown]
	v_fma_f64 v[90:91], v[38:39], v[56:57], -v[88:89]
	v_fma_f64 v[38:39], v[50:51], v[60:61], -v[100:101]
	v_mul_f64 v[50:51], v[16:17], v[74:75]
	v_mul_f64 v[88:89], v[32:33], v[78:79]
	v_fma_f64 v[106:107], v[42:43], v[64:65], -v[102:103]
	v_fma_f64 v[42:43], v[46:47], v[68:69], -v[104:105]
	v_fma_f64 v[126:127], v[36:37], v[56:57], v[58:59]
	v_fma_f64 v[36:37], v[48:49], v[60:61], v[62:63]
	v_mul_f64 v[56:57], v[18:19], v[74:75]
	v_mul_f64 v[58:59], v[20:21], v[82:83]
	;; [unrolled: 1-line block ×4, first 2 shown]
	v_fma_f64 v[118:119], v[40:41], v[64:65], v[66:67]
	v_mul_f64 v[64:65], v[8:9], v[94:95]
	v_mul_f64 v[66:67], v[24:25], v[98:99]
	;; [unrolled: 1-line block ×4, first 2 shown]
	v_fma_f64 v[158:159], v[12:13], v[191:192], v[116:117]
	v_fma_f64 v[142:143], v[4:5], v[195:196], v[128:129]
	v_add_f64 v[48:49], v[90:91], -v[38:39]
	v_add_f64 v[46:47], v[90:91], v[38:39]
	v_fma_f64 v[104:105], v[18:19], v[72:73], -v[50:51]
	v_fma_f64 v[34:35], v[34:35], v[76:77], -v[88:89]
	v_fma_f64 v[18:19], v[44:45], v[68:69], v[70:71]
	v_add_f64 v[102:103], v[106:107], -v[42:43]
	v_add_f64 v[40:41], v[106:107], v[42:43]
	v_add_f64 v[44:45], v[126:127], v[36:37]
	v_add_f64 v[122:123], v[126:127], -v[36:37]
	v_mul_f64 v[50:51], v[22:23], v[82:83]
	v_mul_f64 v[68:69], v[30:31], v[86:87]
	v_fma_f64 v[186:187], v[16:17], v[72:73], v[56:57]
	v_fma_f64 v[176:177], v[22:23], v[80:81], -v[58:59]
	v_fma_f64 v[16:17], v[32:33], v[76:77], v[60:61]
	v_fma_f64 v[22:23], v[30:31], v[84:85], -v[62:63]
	v_mul_f64 v[72:73], v[10:11], v[94:95]
	v_mul_f64 v[76:77], v[4:5], v[197:198]
	v_fma_f64 v[172:173], v[10:11], v[92:93], -v[64:65]
	v_fma_f64 v[32:33], v[26:27], v[96:97], -v[66:67]
	;; [unrolled: 1-line block ×3, first 2 shown]
	v_add_f64 v[128:129], v[158:159], -v[142:143]
	v_mul_f64 v[112:113], v[48:49], s[14:15]
	v_mul_f64 v[114:115], v[46:47], s[6:7]
	;; [unrolled: 1-line block ×6, first 2 shown]
	v_add_f64 v[162:163], v[104:105], -v[34:35]
	v_add_f64 v[124:125], v[104:105], v[34:35]
	v_add_f64 v[100:101], v[118:119], v[18:19]
	v_add_f64 v[168:169], v[118:119], -v[18:19]
	v_mul_f64 v[130:131], v[102:103], s[10:11]
	v_mul_f64 v[134:135], v[40:41], s[2:3]
	;; [unrolled: 1-line block ×6, first 2 shown]
	v_fma_f64 v[184:185], v[20:21], v[80:81], v[50:51]
	v_fma_f64 v[20:21], v[28:29], v[84:85], v[68:69]
	v_add_f64 v[120:121], v[186:187], v[16:17]
	v_add_f64 v[178:179], v[186:187], -v[16:17]
	v_add_f64 v[110:111], v[176:177], -v[22:23]
	v_add_f64 v[28:29], v[176:177], v[22:23]
	v_fma_f64 v[180:181], v[8:9], v[92:93], v[72:73]
	v_fma_f64 v[132:133], v[6:7], v[195:196], -v[76:77]
	v_fma_f64 v[84:85], v[24:25], v[96:97], v[78:79]
	v_add_f64 v[98:99], v[172:173], -v[32:33]
	v_add_f64 v[26:27], v[172:173], v[32:33]
	v_fma_f64 v[30:31], v[44:45], s[6:7], -v[112:113]
	v_fma_f64 v[56:57], v[122:123], s[14:15], v[114:115]
	v_fma_f64 v[58:59], v[44:45], s[12:13], -v[150:151]
	v_fma_f64 v[60:61], v[122:123], s[26:27], v[152:153]
	;; [unrolled: 2-line block ×3, first 2 shown]
	v_mul_f64 v[140:141], v[162:163], s[22:23]
	v_mul_f64 v[144:145], v[124:125], s[16:17]
	;; [unrolled: 1-line block ×6, first 2 shown]
	v_fma_f64 v[10:11], v[100:101], s[2:3], -v[130:131]
	v_fma_f64 v[50:51], v[168:169], s[10:11], v[134:135]
	v_fma_f64 v[64:65], v[100:101], s[16:17], -v[136:137]
	v_fma_f64 v[68:69], v[168:169], s[22:23], v[154:155]
	;; [unrolled: 2-line block ×3, first 2 shown]
	v_add_f64 v[66:67], v[184:185], v[20:21]
	v_add_f64 v[138:139], v[184:185], -v[20:21]
	v_mul_f64 v[82:83], v[110:111], s[36:37]
	v_mul_f64 v[86:87], v[28:29], s[18:19]
	;; [unrolled: 1-line block ×6, first 2 shown]
	v_add_f64 v[116:117], v[180:181], -v[84:85]
	v_add_f64 v[24:25], v[146:147], v[132:133]
	v_mul_f64 v[74:75], v[98:99], s[14:15]
	v_mul_f64 v[76:77], v[26:27], s[6:7]
	;; [unrolled: 1-line block ×3, first 2 shown]
	v_add_f64 v[30:31], v[0:1], v[30:31]
	v_add_f64 v[56:57], v[2:3], v[56:57]
	;; [unrolled: 1-line block ×6, first 2 shown]
	v_fma_f64 v[6:7], v[120:121], s[16:17], -v[140:141]
	v_fma_f64 v[8:9], v[178:179], s[22:23], v[144:145]
	v_fma_f64 v[14:15], v[120:121], s[2:3], -v[148:149]
	v_fma_f64 v[72:73], v[178:179], s[40:41], v[160:161]
	;; [unrolled: 2-line block ×6, first 2 shown]
	v_fma_f64 v[209:210], v[116:117], s[14:15], v[76:77]
	v_add_f64 v[10:11], v[10:11], v[30:31]
	v_add_f64 v[30:31], v[50:51], v[56:57]
	;; [unrolled: 1-line block ×7, first 2 shown]
	v_add_f64 v[108:109], v[146:147], -v[132:133]
	v_mul_f64 v[68:69], v[98:99], s[24:25]
	v_mul_f64 v[70:71], v[26:27], s[12:13]
	;; [unrolled: 1-line block ×3, first 2 shown]
	v_add_f64 v[6:7], v[6:7], v[10:11]
	v_add_f64 v[8:9], v[8:9], v[30:31]
	;; [unrolled: 1-line block ×7, first 2 shown]
	v_mul_f64 v[50:51], v[108:109], s[38:39]
	v_mul_f64 v[56:57], v[24:25], s[20:21]
	;; [unrolled: 1-line block ×6, first 2 shown]
	v_fma_f64 v[203:204], v[58:59], s[12:13], -v[68:69]
	v_fma_f64 v[205:206], v[116:117], s[24:25], v[70:71]
	v_fma_f64 v[207:208], v[58:59], s[6:7], -v[74:75]
	v_fma_f64 v[211:212], v[58:59], s[16:17], -v[78:79]
	v_fma_f64 v[213:214], v[116:117], s[28:29], v[80:81]
	v_add_f64 v[4:5], v[4:5], v[6:7]
	v_add_f64 v[6:7], v[12:13], v[8:9]
	;; [unrolled: 1-line block ×6, first 2 shown]
	v_fma_f64 v[191:192], v[30:31], s[20:21], -v[50:51]
	v_fma_f64 v[193:194], v[128:129], s[38:39], v[56:57]
	v_fma_f64 v[195:196], v[30:31], s[18:19], -v[60:61]
	v_fma_f64 v[197:198], v[128:129], s[34:35], v[62:63]
	v_fma_f64 v[199:200], v[30:31], s[6:7], -v[64:65]
	v_fma_f64 v[201:202], v[128:129], s[30:31], v[72:73]
	v_add_f64 v[4:5], v[203:204], v[4:5]
	v_add_f64 v[6:7], v[205:206], v[6:7]
	;; [unrolled: 1-line block ×12, first 2 shown]
	s_and_saveexec_b32 s1, s0
	s_cbranch_execz .LBB0_15
; %bb.14:
	v_add_f64 v[90:91], v[2:3], v[90:91]
	v_add_f64 v[126:127], v[0:1], v[126:127]
	v_mul_f64 v[191:192], v[122:123], s[14:15]
	v_mul_f64 v[193:194], v[44:45], s[6:7]
	;; [unrolled: 1-line block ×13, first 2 shown]
	s_mov_b32 s39, 0xbfddbe06
	v_mul_f64 v[209:210], v[168:169], s[36:37]
	v_mul_f64 v[231:232], v[100:101], s[16:17]
	;; [unrolled: 1-line block ×11, first 2 shown]
	v_add_f64 v[90:91], v[90:91], v[106:107]
	v_add_f64 v[106:107], v[126:127], v[118:119]
	v_mul_f64 v[118:119], v[44:45], s[2:3]
	v_mul_f64 v[126:127], v[122:123], s[26:27]
	v_add_f64 v[114:115], v[114:115], -v[191:192]
	v_add_f64 v[112:113], v[193:194], v[112:113]
	v_add_f64 v[182:183], v[182:183], -v[195:196]
	v_fma_f64 v[195:196], v[46:47], s[16:17], v[203:204]
	v_mul_f64 v[191:192], v[168:169], s[24:25]
	v_mul_f64 v[168:169], v[168:169], s[14:15]
	v_fma_f64 v[203:204], v[46:47], s[16:17], -v[203:204]
	v_add_f64 v[156:157], v[221:222], v[156:157]
	v_fma_f64 v[221:222], v[46:47], s[18:19], v[211:212]
	v_add_f64 v[160:161], v[160:161], -v[223:224]
	v_fma_f64 v[211:212], v[46:47], s[18:19], -v[211:212]
	v_mul_f64 v[193:194], v[162:163], s[34:35]
	v_add_f64 v[170:171], v[170:171], -v[209:210]
	v_mul_f64 v[209:210], v[162:163], s[14:15]
	v_mul_f64 v[162:163], v[162:163], s[26:27]
	v_add_f64 v[136:137], v[231:232], v[136:137]
	v_add_f64 v[134:135], v[134:135], -v[237:238]
	v_add_f64 v[154:155], v[154:155], -v[225:226]
	;; [unrolled: 1-line block ×3, first 2 shown]
	v_add_f64 v[174:175], v[215:216], v[174:175]
	v_mul_f64 v[215:216], v[66:67], s[18:19]
	v_mul_f64 v[225:226], v[138:139], s[30:31]
	v_add_f64 v[148:149], v[229:230], v[148:149]
	v_mul_f64 v[229:230], v[110:111], s[30:31]
	v_add_f64 v[96:97], v[96:97], -v[217:218]
	v_add_f64 v[92:93], v[92:93], -v[197:198]
	;; [unrolled: 1-line block ×3, first 2 shown]
	v_add_f64 v[88:89], v[227:228], v[88:89]
	v_add_f64 v[94:95], v[219:220], v[94:95]
	v_add_f64 v[56:57], v[56:57], -v[199:200]
	v_add_f64 v[90:91], v[90:91], v[104:105]
	v_add_f64 v[104:105], v[106:107], v[186:187]
	v_mul_f64 v[106:107], v[122:123], s[10:11]
	v_mul_f64 v[186:187], v[44:45], s[12:13]
	v_add_f64 v[118:119], v[118:119], v[164:165]
	v_mul_f64 v[164:165], v[100:101], s[2:3]
	v_mul_f64 v[122:123], v[122:123], s[38:39]
	v_add_f64 v[126:127], v[152:153], -v[126:127]
	v_mul_f64 v[152:153], v[178:179], s[34:35]
	v_add_f64 v[195:196], v[2:3], v[195:196]
	v_add_f64 v[114:115], v[2:3], v[114:115]
	;; [unrolled: 1-line block ×3, first 2 shown]
	v_fma_f64 v[235:236], v[40:41], s[12:13], v[191:192]
	v_fma_f64 v[191:192], v[40:41], s[12:13], -v[191:192]
	v_add_f64 v[211:212], v[2:3], v[211:212]
	v_add_f64 v[221:222], v[2:3], v[221:222]
	;; [unrolled: 1-line block ×5, first 2 shown]
	v_mul_f64 v[176:177], v[48:49], s[22:23]
	v_mul_f64 v[184:185], v[48:49], s[34:35]
	v_add_f64 v[106:107], v[166:167], -v[106:107]
	v_mul_f64 v[166:167], v[120:121], s[16:17]
	v_mul_f64 v[48:49], v[48:49], s[38:39]
	v_add_f64 v[150:151], v[186:187], v[150:151]
	v_mul_f64 v[186:187], v[178:179], s[14:15]
	v_mul_f64 v[178:179], v[178:179], s[26:27]
	v_add_f64 v[130:131], v[164:165], v[130:131]
	v_fma_f64 v[164:165], v[46:47], s[20:21], v[122:123]
	v_fma_f64 v[46:47], v[46:47], s[20:21], -v[122:123]
	v_fma_f64 v[122:123], v[124:125], s[18:19], -v[152:153]
	v_add_f64 v[126:127], v[2:3], v[126:127]
	v_add_f64 v[118:119], v[0:1], v[118:119]
	v_add_f64 v[114:115], v[134:135], v[114:115]
	v_add_f64 v[191:192], v[191:192], v[211:212]
	v_add_f64 v[221:222], v[235:236], v[221:222]
	v_mul_f64 v[211:212], v[116:117], s[28:29]
	v_mul_f64 v[235:236], v[116:117], s[10:11]
	;; [unrolled: 1-line block ×3, first 2 shown]
	v_add_f64 v[90:91], v[90:91], v[172:173]
	v_add_f64 v[104:105], v[104:105], v[180:181]
	v_fma_f64 v[180:181], v[44:45], s[16:17], -v[176:177]
	v_mul_f64 v[172:173], v[102:103], s[24:25]
	v_fma_f64 v[223:224], v[44:45], s[18:19], -v[184:185]
	v_fma_f64 v[184:185], v[44:45], s[18:19], v[184:185]
	v_fma_f64 v[176:177], v[44:45], s[16:17], v[176:177]
	v_mul_f64 v[102:103], v[102:103], s[14:15]
	v_add_f64 v[140:141], v[166:167], v[140:141]
	v_fma_f64 v[166:167], v[44:45], s[20:21], -v[48:49]
	v_fma_f64 v[44:45], v[44:45], s[20:21], v[48:49]
	v_fma_f64 v[48:49], v[124:125], s[18:19], v[152:153]
	;; [unrolled: 1-line block ×3, first 2 shown]
	v_fma_f64 v[186:187], v[124:125], s[6:7], -v[186:187]
	v_fma_f64 v[231:232], v[124:125], s[12:13], v[178:179]
	v_fma_f64 v[124:125], v[124:125], s[12:13], -v[178:179]
	v_fma_f64 v[178:179], v[40:41], s[20:21], v[201:202]
	v_add_f64 v[106:107], v[2:3], v[106:107]
	v_fma_f64 v[201:202], v[40:41], s[20:21], -v[201:202]
	v_add_f64 v[150:151], v[0:1], v[150:151]
	v_add_f64 v[164:165], v[2:3], v[164:165]
	;; [unrolled: 1-line block ×6, first 2 shown]
	v_mul_f64 v[130:131], v[108:109], s[24:25]
	v_add_f64 v[80:81], v[80:81], -v[211:212]
	v_mul_f64 v[156:157], v[128:129], s[34:35]
	v_mul_f64 v[154:155], v[30:31], s[6:7]
	v_fma_f64 v[144:145], v[26:27], s[20:21], v[207:208]
	v_add_f64 v[90:91], v[90:91], v[146:147]
	v_add_f64 v[104:105], v[104:105], v[158:159]
	v_fma_f64 v[158:159], v[100:101], s[20:21], -v[205:206]
	v_add_f64 v[180:181], v[0:1], v[180:181]
	v_fma_f64 v[146:147], v[40:41], s[6:7], v[168:169]
	v_fma_f64 v[40:41], v[40:41], s[6:7], -v[168:169]
	v_add_f64 v[168:169], v[2:3], v[203:204]
	v_fma_f64 v[237:238], v[100:101], s[12:13], -v[172:173]
	v_fma_f64 v[172:173], v[100:101], s[12:13], v[172:173]
	v_add_f64 v[184:185], v[0:1], v[184:185]
	v_fma_f64 v[203:204], v[100:101], s[20:21], v[205:206]
	v_add_f64 v[176:177], v[0:1], v[176:177]
	v_add_f64 v[223:224], v[0:1], v[223:224]
	v_fma_f64 v[205:206], v[120:121], s[18:19], -v[193:194]
	v_fma_f64 v[193:194], v[120:121], s[18:19], v[193:194]
	v_add_f64 v[166:167], v[0:1], v[166:167]
	v_add_f64 v[2:3], v[2:3], v[46:47]
	;; [unrolled: 1-line block ×3, first 2 shown]
	v_fma_f64 v[44:45], v[120:121], s[6:7], -v[209:210]
	v_fma_f64 v[46:47], v[120:121], s[6:7], v[209:210]
	v_fma_f64 v[209:210], v[120:121], s[12:13], -v[162:163]
	v_fma_f64 v[120:121], v[120:121], s[12:13], v[162:163]
	;; [unrolled: 2-line block ×3, first 2 shown]
	v_mul_f64 v[102:103], v[138:139], s[28:29]
	v_add_f64 v[178:179], v[178:179], v[195:196]
	v_mul_f64 v[195:196], v[110:111], s[28:29]
	v_mul_f64 v[138:139], v[138:139], s[10:11]
	;; [unrolled: 1-line block ×3, first 2 shown]
	v_add_f64 v[106:107], v[170:171], v[106:107]
	v_add_f64 v[136:137], v[136:137], v[150:151]
	;; [unrolled: 1-line block ×6, first 2 shown]
	v_mul_f64 v[150:151], v[128:129], s[30:31]
	v_fma_f64 v[160:161], v[58:59], s[20:21], v[213:214]
	v_add_f64 v[86:87], v[86:87], v[114:115]
	v_add_f64 v[90:91], v[90:91], v[132:133]
	;; [unrolled: 1-line block ×3, first 2 shown]
	v_mul_f64 v[132:133], v[58:59], s[12:13]
	v_add_f64 v[158:159], v[158:159], v[180:181]
	v_add_f64 v[146:147], v[146:147], v[164:165]
	v_mul_f64 v[142:143], v[116:117], s[24:25]
	v_add_f64 v[168:169], v[201:202], v[168:169]
	v_mul_f64 v[180:181], v[58:59], s[6:7]
	v_mul_f64 v[201:202], v[116:117], s[14:15]
	v_add_f64 v[172:173], v[172:173], v[184:185]
	v_mul_f64 v[116:117], v[116:117], s[34:35]
	v_add_f64 v[176:177], v[203:204], v[176:177]
	v_add_f64 v[223:224], v[237:238], v[223:224]
	v_mul_f64 v[237:238], v[98:99], s[10:11]
	v_mul_f64 v[98:99], v[98:99], s[34:35]
	;; [unrolled: 1-line block ×3, first 2 shown]
	v_add_f64 v[2:3], v[40:41], v[2:3]
	v_mul_f64 v[184:185], v[30:31], s[20:21]
	v_mul_f64 v[40:41], v[108:109], s[10:11]
	;; [unrolled: 1-line block ×6, first 2 shown]
	v_add_f64 v[0:1], v[100:101], v[0:1]
	v_fma_f64 v[100:101], v[28:29], s[6:7], v[225:226]
	v_fma_f64 v[197:198], v[28:29], s[16:17], v[102:103]
	v_fma_f64 v[215:216], v[66:67], s[16:17], -v[195:196]
	v_fma_f64 v[102:103], v[28:29], s[16:17], -v[102:103]
	v_fma_f64 v[195:196], v[66:67], s[16:17], v[195:196]
	v_fma_f64 v[217:218], v[28:29], s[2:3], v[138:139]
	v_add_f64 v[106:107], v[182:183], v[106:107]
	v_add_f64 v[48:49], v[48:49], v[178:179]
	;; [unrolled: 1-line block ×6, first 2 shown]
	v_fma_f64 v[148:149], v[26:27], s[20:21], -v[207:208]
	v_add_f64 v[62:63], v[62:63], -v[156:157]
	v_add_f64 v[32:33], v[90:91], v[32:33]
	v_add_f64 v[84:85], v[104:105], v[84:85]
	;; [unrolled: 1-line block ×3, first 2 shown]
	v_fma_f64 v[104:105], v[66:67], s[6:7], -v[229:230]
	v_fma_f64 v[162:163], v[28:29], s[6:7], -v[225:226]
	v_fma_f64 v[166:167], v[66:67], s[6:7], v[229:230]
	v_fma_f64 v[28:29], v[28:29], s[2:3], -v[138:139]
	v_fma_f64 v[138:139], v[66:67], s[2:3], -v[110:111]
	v_fma_f64 v[66:67], v[66:67], s[2:3], v[110:111]
	v_add_f64 v[110:111], v[205:206], v[158:159]
	v_add_f64 v[122:123], v[122:123], v[168:169]
	;; [unrolled: 1-line block ×8, first 2 shown]
	v_fma_f64 v[124:125], v[58:59], s[2:3], v[237:238]
	v_fma_f64 v[146:147], v[58:59], s[20:21], -v[213:214]
	v_add_f64 v[70:71], v[70:71], -v[142:143]
	v_add_f64 v[68:69], v[132:133], v[68:69]
	v_fma_f64 v[142:143], v[58:59], s[18:19], -v[98:99]
	v_add_f64 v[76:77], v[76:77], -v[201:202]
	v_add_f64 v[0:1], v[120:121], v[0:1]
	v_fma_f64 v[120:121], v[26:27], s[2:3], -v[235:236]
	v_add_f64 v[74:75], v[180:181], v[74:75]
	v_add_f64 v[78:79], v[203:204], v[78:79]
	v_fma_f64 v[132:133], v[26:27], s[18:19], v[116:117]
	v_fma_f64 v[114:115], v[30:31], s[2:3], -v[40:41]
	v_fma_f64 v[118:119], v[30:31], s[2:3], v[40:41]
	v_add_f64 v[96:97], v[96:97], v[106:107]
	v_add_f64 v[48:49], v[100:101], v[48:49]
	;; [unrolled: 1-line block ×3, first 2 shown]
	v_add_f64 v[40:41], v[72:73], -v[150:151]
	v_add_f64 v[50:51], v[184:185], v[50:51]
	v_fma_f64 v[112:113], v[24:25], s[2:3], v[164:165]
	v_add_f64 v[60:61], v[170:171], v[60:61]
	v_fma_f64 v[72:73], v[24:25], s[16:17], v[128:129]
	v_add_f64 v[22:23], v[32:33], v[22:23]
	v_add_f64 v[20:21], v[84:85], v[20:21]
	;; [unrolled: 1-line block ×3, first 2 shown]
	v_fma_f64 v[90:91], v[58:59], s[2:3], -v[237:238]
	v_fma_f64 v[58:59], v[58:59], s[18:19], v[98:99]
	v_fma_f64 v[84:85], v[26:27], s[2:3], v[235:236]
	v_fma_f64 v[26:27], v[26:27], s[18:19], -v[116:117]
	v_fma_f64 v[116:117], v[24:25], s[2:3], -v[164:165]
	;; [unrolled: 1-line block ×3, first 2 shown]
	v_add_f64 v[98:99], v[104:105], v[110:111]
	v_add_f64 v[100:101], v[162:163], v[122:123]
	;; [unrolled: 1-line block ×9, first 2 shown]
	v_fma_f64 v[122:123], v[30:31], s[16:17], -v[108:109]
	v_fma_f64 v[108:109], v[30:31], s[16:17], v[108:109]
	v_add_f64 v[70:71], v[70:71], v[86:87]
	v_add_f64 v[68:69], v[68:69], v[82:83]
	v_fma_f64 v[28:29], v[24:25], s[12:13], v[134:135]
	v_add_f64 v[0:1], v[66:67], v[0:1]
	v_fma_f64 v[66:67], v[30:31], s[12:13], v[130:131]
	v_add_f64 v[76:77], v[76:77], v[92:93]
	v_add_f64 v[64:65], v[154:155], v[64:65]
	;; [unrolled: 1-line block ×8, first 2 shown]
	v_fma_f64 v[32:33], v[30:31], s[12:13], -v[130:131]
	v_fma_f64 v[34:35], v[24:25], s[12:13], -v[134:135]
	v_add_f64 v[24:25], v[84:85], v[48:49]
	v_add_f64 v[30:31], v[90:91], v[98:99]
	v_add_f64 v[48:49], v[120:121], v[100:101]
	v_add_f64 v[98:99], v[148:149], v[102:103]
	v_add_f64 v[46:47], v[160:161], v[46:47]
	v_add_f64 v[84:85], v[124:125], v[104:105]
	v_add_f64 v[90:91], v[144:145], v[110:111]
	v_add_f64 v[44:45], v[146:147], v[44:45]
	v_add_f64 v[86:87], v[26:27], v[2:3]
	v_add_f64 v[82:83], v[132:133], v[106:107]
	v_add_f64 v[58:59], v[58:59], v[0:1]
	v_add_f64 v[88:89], v[22:23], v[42:43]
	v_add_f64 v[92:93], v[16:17], v[18:19]
	v_add_f64 v[94:95], v[142:143], v[20:21]
	v_add_f64 v[42:43], v[56:57], v[70:71]
	v_lshrrev_b32_e32 v56, 1, v52
	v_add_f64 v[2:3], v[28:29], v[24:25]
	v_add_f64 v[28:29], v[64:65], v[78:79]
	;; [unrolled: 1-line block ×15, first 2 shown]
	v_mul_u32_u24_e32 v56, 26, v56
	v_add_f64 v[48:49], v[108:109], v[58:59]
	s_delay_alu instid0(VALU_DEP_2) | instskip(NEXT) | instid1(VALU_DEP_1)
	v_or_b32_e32 v56, v56, v190
	v_lshl_add_u32 v56, v56, 4, 0
	v_add_f64 v[38:39], v[88:89], v[38:39]
	v_add_f64 v[36:37], v[92:93], v[36:37]
	;; [unrolled: 1-line block ×3, first 2 shown]
	ds_store_b128 v56, v[8:11] offset:320
	ds_store_b128 v56, v[12:15] offset:352
	;; [unrolled: 1-line block ×11, first 2 shown]
	ds_store_b128 v56, v[36:39]
	ds_store_b128 v56, v[44:47] offset:384
.LBB0_15:
	s_or_b32 exec_lo, exec_lo, s1
	v_lshl_add_u32 v48, v52, 4, 0
	s_waitcnt lgkmcnt(0)
	s_barrier
	buffer_gl0_inv
	v_cmp_gt_u32_e64 s0, 39, v52
	ds_load_b128 v[16:19], v48
	ds_load_b128 v[0:3], v48 offset:1872
	ds_load_b128 v[36:39], v48 offset:12480
	;; [unrolled: 1-line block ×8, first 2 shown]
	s_and_saveexec_b32 s1, s0
	s_cbranch_execz .LBB0_17
; %bb.16:
	ds_load_b128 v[4:7], v48 offset:5616
	ds_load_b128 v[8:11], v48 offset:11856
	;; [unrolled: 1-line block ×3, first 2 shown]
.LBB0_17:
	s_or_b32 exec_lo, exec_lo, s1
	v_and_b32_e32 v49, 0xff, v52
	v_and_b32_e32 v50, 0xff, v189
	;; [unrolled: 1-line block ×3, first 2 shown]
	s_mov_b32 s2, 0xe8584caa
	s_mov_b32 s3, 0xbfebb67a
	v_mul_lo_u16 v49, 0x4f, v49
	v_mul_lo_u16 v50, 0x4f, v50
	v_mul_u32_u24_e32 v51, 0x4ec5, v51
	s_mov_b32 s7, 0x3febb67a
	s_mov_b32 s6, s2
	v_lshrrev_b16 v104, 11, v49
	v_and_b32_e32 v49, 0xffff, v188
	v_lshrrev_b16 v105, 11, v50
	v_lshrrev_b32_e32 v51, 19, v51
	s_delay_alu instid0(VALU_DEP_4) | instskip(NEXT) | instid1(VALU_DEP_4)
	v_mul_lo_u16 v50, v104, 26
	v_mul_u32_u24_e32 v49, 0x4ec5, v49
	s_delay_alu instid0(VALU_DEP_4) | instskip(NEXT) | instid1(VALU_DEP_4)
	v_mul_lo_u16 v56, v105, 26
	v_mul_lo_u16 v57, v51, 26
	v_mul_u32_u24_e32 v51, 0x4e0, v51
	v_sub_nc_u16 v50, v52, v50
	v_lshrrev_b32_e32 v49, 19, v49
	v_sub_nc_u16 v56, v189, v56
	v_sub_nc_u16 v57, v53, v57
	s_delay_alu instid0(VALU_DEP_4) | instskip(NEXT) | instid1(VALU_DEP_4)
	v_and_b32_e32 v106, 0xff, v50
	v_mul_lo_u16 v50, v49, 26
	s_delay_alu instid0(VALU_DEP_4) | instskip(NEXT) | instid1(VALU_DEP_4)
	v_and_b32_e32 v107, 0xff, v56
	v_and_b32_e32 v108, 0xffff, v57
	s_delay_alu instid0(VALU_DEP_4) | instskip(NEXT) | instid1(VALU_DEP_4)
	v_lshlrev_b32_e32 v60, 5, v106
	v_sub_nc_u16 v50, v188, v50
	s_delay_alu instid0(VALU_DEP_4) | instskip(NEXT) | instid1(VALU_DEP_4)
	v_lshlrev_b32_e32 v68, 5, v107
	v_lshlrev_b32_e32 v76, 5, v108
	s_clause 0x1
	global_load_b128 v[56:59], v60, s[4:5] offset:384
	global_load_b128 v[60:63], v60, s[4:5] offset:400
	v_and_b32_e32 v50, 0xffff, v50
	s_clause 0x1
	global_load_b128 v[64:67], v68, s[4:5] offset:384
	global_load_b128 v[68:71], v68, s[4:5] offset:400
	v_lshlrev_b32_e32 v84, 5, v50
	s_clause 0x3
	global_load_b128 v[72:75], v76, s[4:5] offset:384
	global_load_b128 v[76:79], v76, s[4:5] offset:400
	;; [unrolled: 1-line block ×4, first 2 shown]
	s_waitcnt vmcnt(0) lgkmcnt(0)
	s_barrier
	buffer_gl0_inv
	v_mul_f64 v[88:89], v[46:47], v[58:59]
	v_mul_f64 v[90:91], v[38:39], v[62:63]
	;; [unrolled: 1-line block ×16, first 2 shown]
	v_fma_f64 v[44:45], v[44:45], v[56:57], v[88:89]
	v_fma_f64 v[36:37], v[36:37], v[60:61], v[90:91]
	v_fma_f64 v[46:47], v[46:47], v[56:57], -v[58:59]
	v_fma_f64 v[38:39], v[38:39], v[60:61], -v[62:63]
	v_fma_f64 v[40:41], v[40:41], v[64:65], v[92:93]
	v_fma_f64 v[56:57], v[24:25], v[68:69], v[94:95]
	v_fma_f64 v[42:43], v[42:43], v[64:65], -v[66:67]
	v_fma_f64 v[58:59], v[26:27], v[68:69], -v[70:71]
	v_fma_f64 v[28:29], v[28:29], v[72:73], v[96:97]
	v_fma_f64 v[24:25], v[8:9], v[80:81], v[100:101]
	;; [unrolled: 1-line block ×3, first 2 shown]
	v_fma_f64 v[26:27], v[10:11], v[80:81], -v[82:83]
	v_fma_f64 v[14:15], v[14:15], v[84:85], -v[86:87]
	v_fma_f64 v[32:33], v[32:33], v[76:77], v[98:99]
	v_fma_f64 v[30:31], v[30:31], v[72:73], -v[74:75]
	v_fma_f64 v[34:35], v[34:35], v[76:77], -v[78:79]
	v_add_f64 v[72:73], v[16:17], v[44:45]
	v_add_f64 v[8:9], v[44:45], v[36:37]
	v_add_f64 v[44:45], v[44:45], -v[36:37]
	v_add_f64 v[10:11], v[46:47], v[38:39]
	v_add_f64 v[74:75], v[46:47], -v[38:39]
	v_add_f64 v[60:61], v[40:41], v[56:57]
	v_add_f64 v[46:47], v[18:19], v[46:47]
	;; [unrolled: 1-line block ×11, first 2 shown]
	v_add_f64 v[42:43], v[42:43], -v[58:59]
	v_add_f64 v[86:87], v[26:27], -v[14:15]
	;; [unrolled: 1-line block ×4, first 2 shown]
	v_fma_f64 v[8:9], v[8:9], -0.5, v[16:17]
	v_add_f64 v[16:17], v[72:73], v[36:37]
	v_fma_f64 v[10:11], v[10:11], -0.5, v[18:19]
	v_fma_f64 v[0:1], v[60:61], -0.5, v[0:1]
	v_add_f64 v[60:61], v[40:41], -v[56:57]
	v_fma_f64 v[2:3], v[62:63], -0.5, v[2:3]
	v_add_f64 v[62:63], v[30:31], -v[34:35]
	v_add_f64 v[18:19], v[46:47], v[38:39]
	v_fma_f64 v[68:69], v[68:69], -0.5, v[4:5]
	v_add_f64 v[28:29], v[80:81], v[32:33]
	v_fma_f64 v[70:71], v[70:71], -0.5, v[6:7]
	v_fma_f64 v[64:65], v[64:65], -0.5, v[20:21]
	v_add_f64 v[30:31], v[82:83], v[34:35]
	v_fma_f64 v[66:67], v[66:67], -0.5, v[22:23]
	v_add_f64 v[20:21], v[76:77], v[56:57]
	v_add_f64 v[22:23], v[78:79], v[58:59]
	v_fma_f64 v[32:33], v[74:75], s[2:3], v[8:9]
	v_fma_f64 v[36:37], v[74:75], s[6:7], v[8:9]
	;; [unrolled: 1-line block ×16, first 2 shown]
	v_and_b32_e32 v64, 0xffff, v104
	v_and_b32_e32 v65, 0xffff, v105
	v_lshlrev_b32_e32 v66, 4, v106
	v_lshlrev_b32_e32 v67, 4, v107
	;; [unrolled: 1-line block ×3, first 2 shown]
	v_mul_u32_u24_e32 v64, 0x4e0, v64
	v_mul_u32_u24_e32 v65, 0x4e0, v65
	s_delay_alu instid0(VALU_DEP_3) | instskip(NEXT) | instid1(VALU_DEP_3)
	v_add3_u32 v51, 0, v51, v68
	v_add3_u32 v64, 0, v64, v66
	s_delay_alu instid0(VALU_DEP_3)
	v_add3_u32 v65, 0, v65, v67
	ds_store_b128 v64, v[16:19]
	ds_store_b128 v64, v[32:35] offset:416
	ds_store_b128 v64, v[36:39] offset:832
	ds_store_b128 v65, v[20:23]
	ds_store_b128 v65, v[40:43] offset:416
	ds_store_b128 v65, v[44:47] offset:832
	;; [unrolled: 3-line block ×3, first 2 shown]
	s_and_saveexec_b32 s1, s0
	s_cbranch_execz .LBB0_19
; %bb.18:
	v_add_f64 v[6:7], v[6:7], v[26:27]
	v_add_f64 v[4:5], v[4:5], v[24:25]
	s_delay_alu instid0(VALU_DEP_2) | instskip(NEXT) | instid1(VALU_DEP_2)
	v_add_f64 v[6:7], v[6:7], v[14:15]
	v_add_f64 v[4:5], v[4:5], v[12:13]
	v_mul_lo_u16 v12, 0x4e, v49
	v_lshlrev_b32_e32 v13, 4, v50
	s_delay_alu instid0(VALU_DEP_2) | instskip(NEXT) | instid1(VALU_DEP_1)
	v_and_b32_e32 v12, 0xffff, v12
	v_lshlrev_b32_e32 v12, 4, v12
	s_delay_alu instid0(VALU_DEP_1)
	v_add3_u32 v12, 0, v13, v12
	ds_store_b128 v12, v[4:7]
	ds_store_b128 v12, v[0:3] offset:416
	ds_store_b128 v12, v[8:11] offset:832
.LBB0_19:
	s_or_b32 exec_lo, exec_lo, s1
	v_lshrrev_b16 v4, 1, v189
	v_add_nc_u32_e32 v5, 0xffffffb2, v52
	v_cmp_gt_u32_e64 s1, 0x4e, v52
	s_waitcnt lgkmcnt(0)
	s_barrier
	v_and_b32_e32 v4, 0x7f, v4
	buffer_gl0_inv
	v_cndmask_b32_e64 v51, v5, v52, s1
	v_mov_b32_e32 v5, 0
	s_mov_b32 s2, 0x134454ff
	v_mul_lo_u16 v4, 0xd3, v4
	s_mov_b32 s3, 0xbfee6f0e
	s_mov_b32 s7, 0x3fee6f0e
	;; [unrolled: 1-line block ×3, first 2 shown]
	s_delay_alu instid0(VALU_DEP_1) | instskip(SKIP_2) | instid1(VALU_DEP_3)
	v_lshrrev_b16 v118, 13, v4
	v_lshlrev_b32_e32 v4, 2, v51
	v_lshlrev_b32_e32 v51, 4, v51
	v_mul_lo_u16 v6, 0x4e, v118
	s_delay_alu instid0(VALU_DEP_3) | instskip(NEXT) | instid1(VALU_DEP_2)
	v_lshlrev_b64 v[4:5], 4, v[4:5]
	v_sub_nc_u16 v6, v189, v6
	s_delay_alu instid0(VALU_DEP_2) | instskip(NEXT) | instid1(VALU_DEP_1)
	v_add_co_u32 v20, s1, s4, v4
	v_add_co_ci_u32_e64 v21, s1, s5, v5, s1
	s_delay_alu instid0(VALU_DEP_3)
	v_and_b32_e32 v119, 0xff, v6
	v_cmp_lt_u32_e64 s1, 0x4d, v52
	s_clause 0x2
	global_load_b128 v[4:7], v[20:21], off offset:1216
	global_load_b128 v[12:15], v[20:21], off offset:1232
	;; [unrolled: 1-line block ×3, first 2 shown]
	v_lshlrev_b32_e32 v36, 6, v119
	s_clause 0x4
	global_load_b128 v[20:23], v[20:21], off offset:1264
	global_load_b128 v[24:27], v36, s[4:5] offset:1216
	global_load_b128 v[28:31], v36, s[4:5] offset:1232
	;; [unrolled: 1-line block ×4, first 2 shown]
	ds_load_b128 v[40:43], v48 offset:3744
	ds_load_b128 v[44:47], v48 offset:7488
	;; [unrolled: 1-line block ×8, first 2 shown]
	s_waitcnt vmcnt(7) lgkmcnt(7)
	v_mul_f64 v[49:50], v[42:43], v[6:7]
	s_waitcnt vmcnt(6) lgkmcnt(6)
	v_mul_f64 v[80:81], v[46:47], v[14:15]
	;; [unrolled: 2-line block ×3, first 2 shown]
	v_mul_f64 v[14:15], v[44:45], v[14:15]
	v_mul_f64 v[18:19], v[56:57], v[18:19]
	;; [unrolled: 1-line block ×3, first 2 shown]
	s_waitcnt vmcnt(4) lgkmcnt(4)
	v_mul_f64 v[84:85], v[62:63], v[22:23]
	v_mul_f64 v[22:23], v[60:61], v[22:23]
	s_waitcnt vmcnt(2) lgkmcnt(2)
	v_mul_f64 v[88:89], v[70:71], v[30:31]
	s_waitcnt vmcnt(1) lgkmcnt(1)
	v_mul_f64 v[90:91], v[74:75], v[34:35]
	v_mul_f64 v[30:31], v[68:69], v[30:31]
	;; [unrolled: 1-line block ×4, first 2 shown]
	s_waitcnt vmcnt(0) lgkmcnt(0)
	v_mul_f64 v[92:93], v[78:79], v[38:39]
	v_mul_f64 v[26:27], v[64:65], v[26:27]
	;; [unrolled: 1-line block ×3, first 2 shown]
	v_fma_f64 v[40:41], v[40:41], v[4:5], v[49:50]
	v_fma_f64 v[44:45], v[44:45], v[12:13], v[80:81]
	;; [unrolled: 1-line block ×3, first 2 shown]
	v_fma_f64 v[46:47], v[46:47], v[12:13], -v[14:15]
	v_fma_f64 v[16:17], v[58:59], v[16:17], -v[18:19]
	;; [unrolled: 1-line block ×3, first 2 shown]
	v_fma_f64 v[56:57], v[60:61], v[20:21], v[84:85]
	v_fma_f64 v[18:19], v[62:63], v[20:21], -v[22:23]
	v_fma_f64 v[22:23], v[68:69], v[28:29], v[88:89]
	v_fma_f64 v[58:59], v[72:73], v[32:33], v[90:91]
	v_fma_f64 v[28:29], v[70:71], v[28:29], -v[30:31]
	v_fma_f64 v[32:33], v[74:75], v[32:33], -v[34:35]
	v_fma_f64 v[20:21], v[64:65], v[24:25], v[86:87]
	v_fma_f64 v[30:31], v[76:77], v[36:37], v[92:93]
	v_fma_f64 v[24:25], v[66:67], v[24:25], -v[26:27]
	v_fma_f64 v[26:27], v[78:79], v[36:37], -v[38:39]
	ds_load_b128 v[4:7], v48
	ds_load_b128 v[12:15], v48 offset:1872
	s_waitcnt lgkmcnt(0)
	s_barrier
	buffer_gl0_inv
	v_add_f64 v[70:71], v[4:5], v[40:41]
	v_add_f64 v[34:35], v[44:45], v[49:50]
	v_add_f64 v[38:39], v[46:47], v[16:17]
	v_add_f64 v[76:77], v[6:7], v[42:43]
	v_add_f64 v[36:37], v[40:41], v[56:57]
	v_add_f64 v[60:61], v[42:43], v[18:19]
	v_add_f64 v[72:73], v[42:43], -v[18:19]
	v_add_f64 v[62:63], v[22:23], v[58:59]
	v_add_f64 v[82:83], v[40:41], -v[56:57]
	v_add_f64 v[66:67], v[28:29], v[32:33]
	v_add_f64 v[78:79], v[12:13], v[20:21]
	v_add_f64 v[64:65], v[20:21], v[30:31]
	v_add_f64 v[80:81], v[14:15], v[24:25]
	v_add_f64 v[68:69], v[24:25], v[26:27]
	v_add_f64 v[74:75], v[46:47], -v[16:17]
	v_add_f64 v[84:85], v[24:25], -v[26:27]
	;; [unrolled: 1-line block ×17, first 2 shown]
	v_fma_f64 v[34:35], v[34:35], -0.5, v[4:5]
	v_fma_f64 v[38:39], v[38:39], -0.5, v[6:7]
	v_add_f64 v[46:47], v[76:77], v[46:47]
	v_fma_f64 v[4:5], v[36:37], -0.5, v[4:5]
	v_add_f64 v[36:37], v[44:45], -v[49:50]
	v_fma_f64 v[6:7], v[60:61], -0.5, v[6:7]
	v_fma_f64 v[62:63], v[62:63], -0.5, v[12:13]
	v_add_f64 v[60:61], v[28:29], -v[32:33]
	v_fma_f64 v[66:67], v[66:67], -0.5, v[14:15]
	v_fma_f64 v[12:13], v[64:65], -0.5, v[12:13]
	v_add_f64 v[64:65], v[22:23], -v[58:59]
	v_fma_f64 v[14:15], v[68:69], -0.5, v[14:15]
	v_add_f64 v[68:69], v[40:41], -v[44:45]
	v_add_f64 v[40:41], v[44:45], -v[40:41]
	v_add_f64 v[44:45], v[70:71], v[44:45]
	v_add_f64 v[22:23], v[78:79], v[22:23]
	;; [unrolled: 1-line block ×5, first 2 shown]
	v_fma_f64 v[70:71], v[72:73], s[2:3], v[34:35]
	v_fma_f64 v[34:35], v[72:73], s[6:7], v[34:35]
	;; [unrolled: 1-line block ×16, first 2 shown]
	s_mov_b32 s2, 0x4755a5e
	s_mov_b32 s3, 0xbfe2cf23
	s_mov_b32 s7, 0x3fe2cf23
	s_mov_b32 s6, s2
	v_add_f64 v[68:69], v[68:69], v[88:89]
	v_add_f64 v[88:89], v[92:93], v[94:95]
	;; [unrolled: 1-line block ×10, first 2 shown]
	v_fma_f64 v[28:29], v[74:75], s[2:3], v[70:71]
	v_fma_f64 v[32:33], v[74:75], s[6:7], v[34:35]
	;; [unrolled: 1-line block ×16, first 2 shown]
	s_mov_b32 s2, 0x372fe950
	s_mov_b32 s3, 0x3fd3c6ef
	v_add_f64 v[12:13], v[20:21], v[56:57]
	v_add_f64 v[14:15], v[16:17], v[18:19]
	;; [unrolled: 1-line block ×4, first 2 shown]
	v_lshlrev_b32_e32 v56, 4, v119
	v_fma_f64 v[20:21], v[68:69], s[2:3], v[28:29]
	v_fma_f64 v[24:25], v[68:69], s[2:3], v[32:33]
	;; [unrolled: 1-line block ×16, first 2 shown]
	v_and_b32_e32 v49, 0xffff, v118
	v_cndmask_b32_e64 v50, 0, 0x1860, s1
	s_delay_alu instid0(VALU_DEP_2) | instskip(NEXT) | instid1(VALU_DEP_2)
	v_mul_u32_u24_e32 v49, 0x1860, v49
	v_add3_u32 v50, 0, v50, v51
	s_delay_alu instid0(VALU_DEP_2)
	v_add3_u32 v49, 0, v49, v56
	ds_store_b128 v50, v[12:15]
	ds_store_b128 v50, v[20:23] offset:1248
	ds_store_b128 v50, v[28:31] offset:2496
	;; [unrolled: 1-line block ×4, first 2 shown]
	ds_store_b128 v49, v[16:19]
	ds_store_b128 v49, v[36:39] offset:1248
	ds_store_b128 v49, v[40:43] offset:2496
	;; [unrolled: 1-line block ×4, first 2 shown]
	s_waitcnt lgkmcnt(0)
	s_barrier
	buffer_gl0_inv
	ds_load_b128 v[12:15], v48
	ds_load_b128 v[16:19], v48 offset:1872
	ds_load_b128 v[24:27], v48 offset:12480
	;; [unrolled: 1-line block ×8, first 2 shown]
	s_and_saveexec_b32 s1, s0
	s_cbranch_execz .LBB0_21
; %bb.20:
	ds_load_b128 v[4:7], v48 offset:5616
	ds_load_b128 v[0:3], v48 offset:11856
	;; [unrolled: 1-line block ×3, first 2 shown]
.LBB0_21:
	s_or_b32 exec_lo, exec_lo, s1
	s_and_saveexec_b32 s1, vcc_lo
	s_cbranch_execz .LBB0_24
; %bb.22:
	v_dual_mov_b32 v49, 0 :: v_dual_lshlrev_b32 v48, 1, v53
	v_lshlrev_b32_e32 v56, 1, v189
	v_lshlrev_b32_e32 v66, 1, v52
	s_mov_b32 s2, 0xe8584caa
	s_mov_b32 s3, 0xbfebb67a
	v_mov_b32_e32 v67, v49
	v_lshlrev_b64 v[50:51], 4, v[48:49]
	v_mov_b32_e32 v57, v49
	s_mov_b32 s7, 0x3febb67a
	s_mov_b32 s6, s2
	s_delay_alu instid0(VALU_DEP_2) | instskip(NEXT) | instid1(VALU_DEP_3)
	v_add_co_u32 v48, vcc_lo, s4, v50
	v_add_co_ci_u32_e32 v58, vcc_lo, s5, v51, vcc_lo
	v_lshlrev_b64 v[64:65], 4, v[56:57]
	s_delay_alu instid0(VALU_DEP_3) | instskip(NEXT) | instid1(VALU_DEP_3)
	v_add_co_u32 v50, vcc_lo, 0x1000, v48
	v_add_co_ci_u32_e32 v51, vcc_lo, 0, v58, vcc_lo
	v_add_co_u32 v60, vcc_lo, 0x1840, v48
	v_add_co_ci_u32_e32 v61, vcc_lo, 0, v58, vcc_lo
	v_add_co_u32 v48, vcc_lo, s4, v64
	s_clause 0x1
	global_load_b128 v[56:59], v[50:51], off offset:2112
	global_load_b128 v[60:63], v[60:61], off offset:16
	v_add_co_ci_u32_e32 v64, vcc_lo, s5, v65, vcc_lo
	v_lshlrev_b64 v[50:51], 4, v[66:67]
	v_add_co_u32 v68, vcc_lo, 0x1840, v48
	s_delay_alu instid0(VALU_DEP_3) | instskip(NEXT) | instid1(VALU_DEP_3)
	v_add_co_ci_u32_e32 v69, vcc_lo, 0, v64, vcc_lo
	v_add_co_u32 v65, vcc_lo, s4, v50
	s_delay_alu instid0(VALU_DEP_4) | instskip(SKIP_2) | instid1(VALU_DEP_4)
	v_add_co_ci_u32_e32 v66, vcc_lo, s5, v51, vcc_lo
	v_add_co_u32 v50, vcc_lo, 0x1000, v48
	v_add_co_ci_u32_e32 v51, vcc_lo, 0, v64, vcc_lo
	v_add_co_u32 v76, vcc_lo, 0x1840, v65
	s_delay_alu instid0(VALU_DEP_4)
	v_add_co_ci_u32_e32 v77, vcc_lo, 0, v66, vcc_lo
	v_add_co_u32 v72, vcc_lo, 0x1000, v65
	v_add_co_ci_u32_e32 v73, vcc_lo, 0, v66, vcc_lo
	s_clause 0x3
	global_load_b128 v[64:67], v[50:51], off offset:2112
	global_load_b128 v[68:71], v[68:69], off offset:16
	;; [unrolled: 1-line block ×4, first 2 shown]
	s_waitcnt vmcnt(5) lgkmcnt(1)
	v_mul_f64 v[50:51], v[32:33], v[58:59]
	s_waitcnt vmcnt(4) lgkmcnt(0)
	v_mul_f64 v[80:81], v[36:37], v[62:63]
	v_mul_f64 v[58:59], v[34:35], v[58:59]
	;; [unrolled: 1-line block ×3, first 2 shown]
	s_waitcnt vmcnt(3)
	v_mul_f64 v[82:83], v[44:45], v[66:67]
	s_waitcnt vmcnt(2)
	v_mul_f64 v[84:85], v[40:41], v[70:71]
	;; [unrolled: 2-line block ×4, first 2 shown]
	v_mul_f64 v[74:75], v[30:31], v[74:75]
	v_mul_f64 v[78:79], v[26:27], v[78:79]
	;; [unrolled: 1-line block ×4, first 2 shown]
	v_fma_f64 v[34:35], v[34:35], v[56:57], -v[50:51]
	v_fma_f64 v[38:39], v[38:39], v[60:61], -v[80:81]
	v_fma_f64 v[32:33], v[32:33], v[56:57], v[58:59]
	v_fma_f64 v[36:37], v[36:37], v[60:61], v[62:63]
	v_fma_f64 v[46:47], v[46:47], v[64:65], -v[82:83]
	v_fma_f64 v[42:43], v[42:43], v[68:69], -v[84:85]
	;; [unrolled: 1-line block ×4, first 2 shown]
	v_fma_f64 v[28:29], v[28:29], v[72:73], v[74:75]
	v_fma_f64 v[24:25], v[24:25], v[76:77], v[78:79]
	;; [unrolled: 1-line block ×4, first 2 shown]
	v_add_f64 v[68:69], v[22:23], v[34:35]
	v_add_f64 v[50:51], v[34:35], v[38:39]
	;; [unrolled: 1-line block ×3, first 2 shown]
	v_add_f64 v[66:67], v[32:33], -v[36:37]
	v_add_f64 v[32:33], v[20:21], v[32:33]
	v_add_f64 v[72:73], v[18:19], v[46:47]
	;; [unrolled: 1-line block ×3, first 2 shown]
	v_add_f64 v[74:75], v[46:47], -v[42:43]
	v_add_f64 v[60:61], v[30:31], v[26:27]
	v_add_f64 v[46:47], v[14:15], v[30:31]
	;; [unrolled: 1-line block ×5, first 2 shown]
	v_add_f64 v[70:71], v[44:45], -v[40:41]
	v_add_f64 v[44:45], v[16:17], v[44:45]
	v_add_f64 v[28:29], v[28:29], -v[24:25]
	v_add_f64 v[78:79], v[30:31], -v[26:27]
	v_fma_f64 v[50:51], v[50:51], -0.5, v[22:23]
	v_add_f64 v[22:23], v[72:73], v[42:43]
	v_fma_f64 v[56:57], v[56:57], -0.5, v[18:19]
	v_add_f64 v[18:19], v[68:69], v[38:39]
	v_fma_f64 v[14:15], v[60:61], -0.5, v[14:15]
	v_add_f64 v[60:61], v[34:35], -v[38:39]
	v_fma_f64 v[12:13], v[62:63], -0.5, v[12:13]
	v_fma_f64 v[62:63], v[64:65], -0.5, v[20:21]
	;; [unrolled: 1-line block ×3, first 2 shown]
	v_lshrrev_b32_e32 v16, 1, v53
	v_add_f64 v[26:27], v[46:47], v[26:27]
	v_add_f64 v[24:25], v[76:77], v[24:25]
	;; [unrolled: 1-line block ×3, first 2 shown]
	v_mov_b32_e32 v53, v49
	v_mul_hi_u32 v16, 0xa80a80a9, v16
	v_fma_f64 v[34:35], v[66:67], s[6:7], v[50:51]
	v_fma_f64 v[30:31], v[66:67], s[2:3], v[50:51]
	s_delay_alu instid0(VALU_DEP_4) | instskip(NEXT) | instid1(VALU_DEP_4)
	v_lshlrev_b64 v[64:65], 4, v[52:53]
	v_lshrrev_b32_e32 v48, 7, v16
	v_add_f64 v[16:17], v[32:33], v[36:37]
	s_delay_alu instid0(VALU_DEP_2) | instskip(NEXT) | instid1(VALU_DEP_1)
	v_mul_u32_u24_e32 v48, 0x30c, v48
	v_lshlrev_b64 v[50:51], 4, v[48:49]
	v_fma_f64 v[42:43], v[70:71], s[6:7], v[56:57]
	v_fma_f64 v[38:39], v[70:71], s[2:3], v[56:57]
	;; [unrolled: 1-line block ×10, first 2 shown]
	v_add_co_u32 v12, vcc_lo, s8, v54
	v_add_co_ci_u32_e32 v13, vcc_lo, s9, v55, vcc_lo
	s_delay_alu instid0(VALU_DEP_2) | instskip(NEXT) | instid1(VALU_DEP_2)
	v_add_co_u32 v12, vcc_lo, v12, v64
	v_add_co_ci_u32_e32 v13, vcc_lo, v13, v65, vcc_lo
	s_delay_alu instid0(VALU_DEP_2) | instskip(NEXT) | instid1(VALU_DEP_2)
	v_add_co_u32 v14, vcc_lo, 0x1000, v12
	v_add_co_ci_u32_e32 v15, vcc_lo, 0, v13, vcc_lo
	v_add_co_u32 v50, vcc_lo, v12, v50
	v_add_co_ci_u32_e32 v51, vcc_lo, v13, v51, vcc_lo
	v_add_co_u32 v53, vcc_lo, 0x3000, v12
	v_add_co_ci_u32_e32 v54, vcc_lo, 0, v13, vcc_lo
	s_delay_alu instid0(VALU_DEP_4) | instskip(NEXT) | instid1(VALU_DEP_4)
	v_add_co_u32 v60, vcc_lo, 0x2000, v50
	v_add_co_ci_u32_e32 v61, vcc_lo, 0, v51, vcc_lo
	v_add_co_u32 v62, vcc_lo, 0x3000, v50
	v_add_co_ci_u32_e32 v63, vcc_lo, 0, v51, vcc_lo
	s_clause 0x8
	global_store_b128 v[12:13], v[24:27], off
	global_store_b128 v[12:13], v[20:23], off offset:1872
	global_store_b128 v[14:15], v[44:47], off offset:2144
	;; [unrolled: 1-line block ×8, first 2 shown]
	s_and_b32 exec_lo, exec_lo, s0
	s_cbranch_execz .LBB0_24
; %bb.23:
	v_subrev_nc_u32_e32 v16, 39, v52
	s_delay_alu instid0(VALU_DEP_1) | instskip(NEXT) | instid1(VALU_DEP_1)
	v_cndmask_b32_e64 v16, v16, v188, s0
	v_lshlrev_b32_e32 v48, 1, v16
	s_delay_alu instid0(VALU_DEP_1) | instskip(NEXT) | instid1(VALU_DEP_1)
	v_lshlrev_b64 v[16:17], 4, v[48:49]
	v_add_co_u32 v18, vcc_lo, s4, v16
	s_delay_alu instid0(VALU_DEP_2) | instskip(NEXT) | instid1(VALU_DEP_2)
	v_add_co_ci_u32_e32 v19, vcc_lo, s5, v17, vcc_lo
	v_add_co_u32 v16, vcc_lo, 0x1000, v18
	s_delay_alu instid0(VALU_DEP_2)
	v_add_co_ci_u32_e32 v17, vcc_lo, 0, v19, vcc_lo
	v_add_co_u32 v20, vcc_lo, 0x1840, v18
	v_add_co_ci_u32_e32 v21, vcc_lo, 0, v19, vcc_lo
	s_clause 0x1
	global_load_b128 v[16:19], v[16:17], off offset:2112
	global_load_b128 v[20:23], v[20:21], off offset:16
	s_waitcnt vmcnt(1)
	v_mul_f64 v[24:25], v[2:3], v[18:19]
	s_waitcnt vmcnt(0)
	v_mul_f64 v[26:27], v[10:11], v[22:23]
	v_mul_f64 v[18:19], v[0:1], v[18:19]
	;; [unrolled: 1-line block ×3, first 2 shown]
	s_delay_alu instid0(VALU_DEP_4) | instskip(NEXT) | instid1(VALU_DEP_4)
	v_fma_f64 v[0:1], v[0:1], v[16:17], v[24:25]
	v_fma_f64 v[8:9], v[8:9], v[20:21], v[26:27]
	s_delay_alu instid0(VALU_DEP_4) | instskip(NEXT) | instid1(VALU_DEP_4)
	v_fma_f64 v[2:3], v[2:3], v[16:17], -v[18:19]
	v_fma_f64 v[10:11], v[10:11], v[20:21], -v[22:23]
	s_delay_alu instid0(VALU_DEP_4) | instskip(NEXT) | instid1(VALU_DEP_4)
	v_add_f64 v[20:21], v[4:5], v[0:1]
	v_add_f64 v[16:17], v[0:1], v[8:9]
	v_add_f64 v[24:25], v[0:1], -v[8:9]
	s_delay_alu instid0(VALU_DEP_4)
	v_add_f64 v[18:19], v[2:3], v[10:11]
	v_add_f64 v[22:23], v[2:3], -v[10:11]
	v_add_f64 v[2:3], v[6:7], v[2:3]
	v_add_f64 v[0:1], v[20:21], v[8:9]
	v_fma_f64 v[16:17], v[16:17], -0.5, v[4:5]
	v_fma_f64 v[18:19], v[18:19], -0.5, v[6:7]
	s_delay_alu instid0(VALU_DEP_4) | instskip(NEXT) | instid1(VALU_DEP_3)
	v_add_f64 v[2:3], v[2:3], v[10:11]
	v_fma_f64 v[4:5], v[22:23], s[2:3], v[16:17]
	v_fma_f64 v[8:9], v[22:23], s[6:7], v[16:17]
	s_delay_alu instid0(VALU_DEP_4)
	v_fma_f64 v[6:7], v[24:25], s[6:7], v[18:19]
	v_fma_f64 v[10:11], v[24:25], s[2:3], v[18:19]
	v_add_co_u32 v16, vcc_lo, 0x2000, v12
	v_add_co_ci_u32_e32 v17, vcc_lo, 0, v13, vcc_lo
	v_add_co_u32 v12, vcc_lo, 0x4000, v12
	v_add_co_ci_u32_e32 v13, vcc_lo, 0, v13, vcc_lo
	s_clause 0x2
	global_store_b128 v[14:15], v[0:3], off offset:1520
	global_store_b128 v[16:17], v[4:7], off offset:3664
	;; [unrolled: 1-line block ×3, first 2 shown]
.LBB0_24:
	s_nop 0
	s_sendmsg sendmsg(MSG_DEALLOC_VGPRS)
	s_endpgm
	.section	.rodata,"a",@progbits
	.p2align	6, 0x0
	.amdhsa_kernel fft_rtc_back_len1170_factors_2_13_3_5_3_wgs_117_tpt_117_dp_ip_CI_unitstride_sbrr_dirReg
		.amdhsa_group_segment_fixed_size 0
		.amdhsa_private_segment_fixed_size 0
		.amdhsa_kernarg_size 88
		.amdhsa_user_sgpr_count 15
		.amdhsa_user_sgpr_dispatch_ptr 0
		.amdhsa_user_sgpr_queue_ptr 0
		.amdhsa_user_sgpr_kernarg_segment_ptr 1
		.amdhsa_user_sgpr_dispatch_id 0
		.amdhsa_user_sgpr_private_segment_size 0
		.amdhsa_wavefront_size32 1
		.amdhsa_uses_dynamic_stack 0
		.amdhsa_enable_private_segment 0
		.amdhsa_system_sgpr_workgroup_id_x 1
		.amdhsa_system_sgpr_workgroup_id_y 0
		.amdhsa_system_sgpr_workgroup_id_z 0
		.amdhsa_system_sgpr_workgroup_info 0
		.amdhsa_system_vgpr_workitem_id 0
		.amdhsa_next_free_vgpr 239
		.amdhsa_next_free_sgpr 42
		.amdhsa_reserve_vcc 1
		.amdhsa_float_round_mode_32 0
		.amdhsa_float_round_mode_16_64 0
		.amdhsa_float_denorm_mode_32 3
		.amdhsa_float_denorm_mode_16_64 3
		.amdhsa_dx10_clamp 1
		.amdhsa_ieee_mode 1
		.amdhsa_fp16_overflow 0
		.amdhsa_workgroup_processor_mode 1
		.amdhsa_memory_ordered 1
		.amdhsa_forward_progress 0
		.amdhsa_shared_vgpr_count 0
		.amdhsa_exception_fp_ieee_invalid_op 0
		.amdhsa_exception_fp_denorm_src 0
		.amdhsa_exception_fp_ieee_div_zero 0
		.amdhsa_exception_fp_ieee_overflow 0
		.amdhsa_exception_fp_ieee_underflow 0
		.amdhsa_exception_fp_ieee_inexact 0
		.amdhsa_exception_int_div_zero 0
	.end_amdhsa_kernel
	.text
.Lfunc_end0:
	.size	fft_rtc_back_len1170_factors_2_13_3_5_3_wgs_117_tpt_117_dp_ip_CI_unitstride_sbrr_dirReg, .Lfunc_end0-fft_rtc_back_len1170_factors_2_13_3_5_3_wgs_117_tpt_117_dp_ip_CI_unitstride_sbrr_dirReg
                                        ; -- End function
	.section	.AMDGPU.csdata,"",@progbits
; Kernel info:
; codeLenInByte = 11284
; NumSgprs: 44
; NumVgprs: 239
; ScratchSize: 0
; MemoryBound: 1
; FloatMode: 240
; IeeeMode: 1
; LDSByteSize: 0 bytes/workgroup (compile time only)
; SGPRBlocks: 5
; VGPRBlocks: 29
; NumSGPRsForWavesPerEU: 44
; NumVGPRsForWavesPerEU: 239
; Occupancy: 6
; WaveLimiterHint : 1
; COMPUTE_PGM_RSRC2:SCRATCH_EN: 0
; COMPUTE_PGM_RSRC2:USER_SGPR: 15
; COMPUTE_PGM_RSRC2:TRAP_HANDLER: 0
; COMPUTE_PGM_RSRC2:TGID_X_EN: 1
; COMPUTE_PGM_RSRC2:TGID_Y_EN: 0
; COMPUTE_PGM_RSRC2:TGID_Z_EN: 0
; COMPUTE_PGM_RSRC2:TIDIG_COMP_CNT: 0
	.text
	.p2alignl 7, 3214868480
	.fill 96, 4, 3214868480
	.type	__hip_cuid_99345d68534481c4,@object ; @__hip_cuid_99345d68534481c4
	.section	.bss,"aw",@nobits
	.globl	__hip_cuid_99345d68534481c4
__hip_cuid_99345d68534481c4:
	.byte	0                               ; 0x0
	.size	__hip_cuid_99345d68534481c4, 1

	.ident	"AMD clang version 19.0.0git (https://github.com/RadeonOpenCompute/llvm-project roc-6.4.0 25133 c7fe45cf4b819c5991fe208aaa96edf142730f1d)"
	.section	".note.GNU-stack","",@progbits
	.addrsig
	.addrsig_sym __hip_cuid_99345d68534481c4
	.amdgpu_metadata
---
amdhsa.kernels:
  - .args:
      - .actual_access:  read_only
        .address_space:  global
        .offset:         0
        .size:           8
        .value_kind:     global_buffer
      - .offset:         8
        .size:           8
        .value_kind:     by_value
      - .actual_access:  read_only
        .address_space:  global
        .offset:         16
        .size:           8
        .value_kind:     global_buffer
      - .actual_access:  read_only
        .address_space:  global
        .offset:         24
        .size:           8
        .value_kind:     global_buffer
      - .offset:         32
        .size:           8
        .value_kind:     by_value
      - .actual_access:  read_only
        .address_space:  global
        .offset:         40
        .size:           8
        .value_kind:     global_buffer
      - .actual_access:  read_only
        .address_space:  global
        .offset:         48
        .size:           8
        .value_kind:     global_buffer
      - .offset:         56
        .size:           4
        .value_kind:     by_value
      - .actual_access:  read_only
        .address_space:  global
        .offset:         64
        .size:           8
        .value_kind:     global_buffer
      - .actual_access:  read_only
        .address_space:  global
        .offset:         72
        .size:           8
        .value_kind:     global_buffer
      - .address_space:  global
        .offset:         80
        .size:           8
        .value_kind:     global_buffer
    .group_segment_fixed_size: 0
    .kernarg_segment_align: 8
    .kernarg_segment_size: 88
    .language:       OpenCL C
    .language_version:
      - 2
      - 0
    .max_flat_workgroup_size: 117
    .name:           fft_rtc_back_len1170_factors_2_13_3_5_3_wgs_117_tpt_117_dp_ip_CI_unitstride_sbrr_dirReg
    .private_segment_fixed_size: 0
    .sgpr_count:     44
    .sgpr_spill_count: 0
    .symbol:         fft_rtc_back_len1170_factors_2_13_3_5_3_wgs_117_tpt_117_dp_ip_CI_unitstride_sbrr_dirReg.kd
    .uniform_work_group_size: 1
    .uses_dynamic_stack: false
    .vgpr_count:     239
    .vgpr_spill_count: 0
    .wavefront_size: 32
    .workgroup_processor_mode: 1
amdhsa.target:   amdgcn-amd-amdhsa--gfx1100
amdhsa.version:
  - 1
  - 2
...

	.end_amdgpu_metadata
